;; amdgpu-corpus repo=zjin-lcf/HeCBench kind=compiled arch=gfx950 opt=O3
	.amdgcn_target "amdgcn-amd-amdhsa--gfx950"
	.amdhsa_code_object_version 6
	.text
	.protected	_Z14ReluGrad_impl1PK6__halfS1_PS_i ; -- Begin function _Z14ReluGrad_impl1PK6__halfS1_PS_i
	.globl	_Z14ReluGrad_impl1PK6__halfS1_PS_i
	.p2align	8
	.type	_Z14ReluGrad_impl1PK6__halfS1_PS_i,@function
_Z14ReluGrad_impl1PK6__halfS1_PS_i:     ; @_Z14ReluGrad_impl1PK6__halfS1_PS_i
; %bb.0:
	s_load_dword s10, s[0:1], 0x18
	s_load_dword s3, s[0:1], 0x2c
	s_load_dwordx4 s[4:7], s[0:1], 0x0
	s_load_dwordx2 s[8:9], s[0:1], 0x10
	s_waitcnt lgkmcnt(0)
	s_ashr_i32 s11, s10, 1
	s_add_u32 s12, s0, 32
	s_addc_u32 s13, s1, 0
	s_and_b32 s14, s3, 0xffff
	s_mul_i32 s2, s2, s14
	v_add_u32_e32 v0, s2, v0
	v_cmp_gt_i32_e32 vcc, s11, v0
	s_and_saveexec_b64 s[0:1], vcc
	s_cbranch_execz .LBB0_4
; %bb.1:
	s_load_dword s12, s[12:13], 0x0
	v_ashrrev_i32_e32 v1, 31, v0
	s_mov_b64 s[2:3], 0
	v_mov_b32_e32 v4, 0x3c00
	v_lshlrev_b64 v[2:3], 2, v[0:1]
	s_waitcnt lgkmcnt(0)
	s_mul_i32 s12, s12, s14
	s_ashr_i32 s13, s12, 31
	s_lshl_b64 s[14:15], s[12:13], 2
	v_mov_b32_e32 v1, 0
.LBB0_2:                                ; =>This Inner Loop Header: Depth=1
	v_lshl_add_u64 v[6:7], s[6:7], 0, v[2:3]
	global_load_dword v5, v[6:7], off
	v_lshl_add_u64 v[6:7], s[4:5], 0, v[2:3]
	global_load_dword v8, v[6:7], off
	v_add_u32_e32 v0, s12, v0
	v_cmp_le_i32_e32 vcc, s11, v0
	s_or_b64 s[2:3], vcc, s[2:3]
	v_lshl_add_u64 v[6:7], s[8:9], 0, v[2:3]
	v_lshl_add_u64 v[2:3], v[2:3], 0, s[14:15]
	s_waitcnt vmcnt(1)
	v_cmp_lt_f16_e32 vcc, 0, v5
	s_nop 1
	v_cndmask_b32_e32 v9, 0, v4, vcc
	v_cmp_gt_f16_sdwa vcc, v5, v1 src0_sel:WORD_1 src1_sel:DWORD
	s_nop 1
	v_cndmask_b32_e32 v5, 0, v4, vcc
	v_pack_b32_f16 v5, v9, v5
	s_waitcnt vmcnt(0)
	v_pk_mul_f16 v5, v8, v5
	global_store_dword v[6:7], v5, off
	s_andn2_b64 exec, exec, s[2:3]
	s_cbranch_execnz .LBB0_2
; %bb.3:
	s_or_b64 exec, exec, s[2:3]
.LBB0_4:
	s_or_b64 exec, exec, s[0:1]
	s_bitcmp1_b32 s10, 0
	s_cselect_b64 s[0:1], -1, 0
	v_cmp_eq_u32_e32 vcc, s11, v0
	s_and_b64 s[0:1], s[0:1], vcc
	s_and_saveexec_b64 s[2:3], s[0:1]
	s_cbranch_execz .LBB0_6
; %bb.5:
	s_ashr_i32 s11, s10, 31
	s_lshl_b64 s[0:1], s[10:11], 1
	s_add_u32 s2, s4, s0
	s_addc_u32 s3, s5, s1
	s_add_u32 s4, s6, s0
	v_mov_b32_e32 v0, 0
	s_addc_u32 s5, s7, s1
	global_load_ushort v1, v0, s[4:5] offset:-2
	global_load_ushort v2, v0, s[2:3] offset:-2
	s_add_u32 s0, s8, s0
	s_addc_u32 s1, s9, s1
	s_waitcnt vmcnt(1)
	v_cmp_lt_f16_e32 vcc, 0, v1
	s_waitcnt vmcnt(0)
	s_nop 0
	v_cndmask_b32_e32 v1, 0, v2, vcc
	global_store_short v0, v1, s[0:1] offset:-2
.LBB0_6:
	s_endpgm
	.section	.rodata,"a",@progbits
	.p2align	6, 0x0
	.amdhsa_kernel _Z14ReluGrad_impl1PK6__halfS1_PS_i
		.amdhsa_group_segment_fixed_size 0
		.amdhsa_private_segment_fixed_size 0
		.amdhsa_kernarg_size 288
		.amdhsa_user_sgpr_count 2
		.amdhsa_user_sgpr_dispatch_ptr 0
		.amdhsa_user_sgpr_queue_ptr 0
		.amdhsa_user_sgpr_kernarg_segment_ptr 1
		.amdhsa_user_sgpr_dispatch_id 0
		.amdhsa_user_sgpr_kernarg_preload_length 0
		.amdhsa_user_sgpr_kernarg_preload_offset 0
		.amdhsa_user_sgpr_private_segment_size 0
		.amdhsa_uses_dynamic_stack 0
		.amdhsa_enable_private_segment 0
		.amdhsa_system_sgpr_workgroup_id_x 1
		.amdhsa_system_sgpr_workgroup_id_y 0
		.amdhsa_system_sgpr_workgroup_id_z 0
		.amdhsa_system_sgpr_workgroup_info 0
		.amdhsa_system_vgpr_workitem_id 0
		.amdhsa_next_free_vgpr 10
		.amdhsa_next_free_sgpr 16
		.amdhsa_accum_offset 12
		.amdhsa_reserve_vcc 1
		.amdhsa_float_round_mode_32 0
		.amdhsa_float_round_mode_16_64 0
		.amdhsa_float_denorm_mode_32 3
		.amdhsa_float_denorm_mode_16_64 3
		.amdhsa_dx10_clamp 1
		.amdhsa_ieee_mode 1
		.amdhsa_fp16_overflow 0
		.amdhsa_tg_split 0
		.amdhsa_exception_fp_ieee_invalid_op 0
		.amdhsa_exception_fp_denorm_src 0
		.amdhsa_exception_fp_ieee_div_zero 0
		.amdhsa_exception_fp_ieee_overflow 0
		.amdhsa_exception_fp_ieee_underflow 0
		.amdhsa_exception_fp_ieee_inexact 0
		.amdhsa_exception_int_div_zero 0
	.end_amdhsa_kernel
	.text
.Lfunc_end0:
	.size	_Z14ReluGrad_impl1PK6__halfS1_PS_i, .Lfunc_end0-_Z14ReluGrad_impl1PK6__halfS1_PS_i
                                        ; -- End function
	.set _Z14ReluGrad_impl1PK6__halfS1_PS_i.num_vgpr, 10
	.set _Z14ReluGrad_impl1PK6__halfS1_PS_i.num_agpr, 0
	.set _Z14ReluGrad_impl1PK6__halfS1_PS_i.numbered_sgpr, 16
	.set _Z14ReluGrad_impl1PK6__halfS1_PS_i.num_named_barrier, 0
	.set _Z14ReluGrad_impl1PK6__halfS1_PS_i.private_seg_size, 0
	.set _Z14ReluGrad_impl1PK6__halfS1_PS_i.uses_vcc, 1
	.set _Z14ReluGrad_impl1PK6__halfS1_PS_i.uses_flat_scratch, 0
	.set _Z14ReluGrad_impl1PK6__halfS1_PS_i.has_dyn_sized_stack, 0
	.set _Z14ReluGrad_impl1PK6__halfS1_PS_i.has_recursion, 0
	.set _Z14ReluGrad_impl1PK6__halfS1_PS_i.has_indirect_call, 0
	.section	.AMDGPU.csdata,"",@progbits
; Kernel info:
; codeLenInByte = 372
; TotalNumSgprs: 22
; NumVgprs: 10
; NumAgprs: 0
; TotalNumVgprs: 10
; ScratchSize: 0
; MemoryBound: 0
; FloatMode: 240
; IeeeMode: 1
; LDSByteSize: 0 bytes/workgroup (compile time only)
; SGPRBlocks: 2
; VGPRBlocks: 1
; NumSGPRsForWavesPerEU: 22
; NumVGPRsForWavesPerEU: 10
; AccumOffset: 12
; Occupancy: 8
; WaveLimiterHint : 0
; COMPUTE_PGM_RSRC2:SCRATCH_EN: 0
; COMPUTE_PGM_RSRC2:USER_SGPR: 2
; COMPUTE_PGM_RSRC2:TRAP_HANDLER: 0
; COMPUTE_PGM_RSRC2:TGID_X_EN: 1
; COMPUTE_PGM_RSRC2:TGID_Y_EN: 0
; COMPUTE_PGM_RSRC2:TGID_Z_EN: 0
; COMPUTE_PGM_RSRC2:TIDIG_COMP_CNT: 0
; COMPUTE_PGM_RSRC3_GFX90A:ACCUM_OFFSET: 2
; COMPUTE_PGM_RSRC3_GFX90A:TG_SPLIT: 0
	.text
	.protected	_Z14ReluGrad_impl2PK6__halfS1_PS_i ; -- Begin function _Z14ReluGrad_impl2PK6__halfS1_PS_i
	.globl	_Z14ReluGrad_impl2PK6__halfS1_PS_i
	.p2align	8
	.type	_Z14ReluGrad_impl2PK6__halfS1_PS_i,@function
_Z14ReluGrad_impl2PK6__halfS1_PS_i:     ; @_Z14ReluGrad_impl2PK6__halfS1_PS_i
; %bb.0:
	s_load_dword s10, s[0:1], 0x18
	s_load_dwordx4 s[4:7], s[0:1], 0x0
	s_load_dwordx2 s[8:9], s[0:1], 0x10
	s_load_dword s11, s[0:1], 0x2c
	s_waitcnt lgkmcnt(0)
	s_ashr_i32 s0, s10, 31
	s_lshr_b32 s0, s0, 29
	s_add_i32 s0, s10, s0
	s_ashr_i32 s3, s0, 3
	s_and_b32 s0, s11, 0xffff
	s_mul_i32 s2, s2, s0
	v_add_u32_e32 v0, s2, v0
	v_cmp_gt_i32_e32 vcc, s3, v0
	s_and_saveexec_b64 s[0:1], vcc
	s_cbranch_execz .LBB1_2
; %bb.1:
	v_ashrrev_i32_e32 v1, 31, v0
	v_lshlrev_b64 v[10:11], 4, v[0:1]
	v_lshl_add_u64 v[2:3], s[6:7], 0, v[10:11]
	global_load_dwordx4 v[2:5], v[2:3], off
	v_lshl_add_u64 v[6:7], s[4:5], 0, v[10:11]
	global_load_dwordx4 v[6:9], v[6:7], off
	v_mov_b32_e32 v1, 0
	v_mov_b32_e32 v12, 0x3c00
	s_waitcnt vmcnt(1)
	v_cmp_lt_f16_e32 vcc, 0, v2
	s_nop 1
	v_cndmask_b32_e32 v13, 0, v12, vcc
	v_cmp_gt_f16_sdwa vcc, v2, v1 src0_sel:WORD_1 src1_sel:DWORD
	s_nop 1
	v_cndmask_b32_e32 v2, 0, v12, vcc
	v_cmp_lt_f16_e32 vcc, 0, v3
	v_pack_b32_f16 v2, v13, v2
	s_waitcnt vmcnt(0)
	v_pk_mul_f16 v2, v6, v2
	v_cndmask_b32_e32 v14, 0, v12, vcc
	v_cmp_gt_f16_sdwa vcc, v3, v1 src0_sel:WORD_1 src1_sel:DWORD
	s_nop 1
	v_cndmask_b32_e32 v3, 0, v12, vcc
	v_cmp_lt_f16_e32 vcc, 0, v4
	v_pack_b32_f16 v3, v14, v3
	v_pk_mul_f16 v3, v7, v3
	v_cndmask_b32_e32 v15, 0, v12, vcc
	v_cmp_gt_f16_sdwa vcc, v4, v1 src0_sel:WORD_1 src1_sel:DWORD
	v_lshl_add_u64 v[6:7], s[8:9], 0, v[10:11]
	s_nop 0
	v_cndmask_b32_e32 v4, 0, v12, vcc
	v_cmp_lt_f16_e32 vcc, 0, v5
	v_pack_b32_f16 v4, v15, v4
	v_pk_mul_f16 v4, v8, v4
	v_cndmask_b32_e32 v16, 0, v12, vcc
	v_cmp_gt_f16_sdwa vcc, v5, v1 src0_sel:WORD_1 src1_sel:DWORD
	s_nop 1
	v_cndmask_b32_e32 v1, 0, v12, vcc
	v_pack_b32_f16 v1, v16, v1
	v_pk_mul_f16 v5, v9, v1
	global_store_dwordx4 v[6:7], v[2:5], off
.LBB1_2:
	s_or_b64 exec, exec, s[0:1]
	s_lshl_b32 s0, s3, 3
	s_sub_i32 s0, s10, s0
	v_cmp_gt_i32_e32 vcc, s0, v0
	s_and_saveexec_b64 s[0:1], vcc
	s_cbranch_execz .LBB1_4
; %bb.3:
	v_lshl_add_u32 v0, s3, 3, v0
	v_ashrrev_i32_e32 v1, 31, v0
	v_lshlrev_b64 v[0:1], 1, v[0:1]
	v_lshl_add_u64 v[4:5], s[6:7], 0, v[0:1]
	v_lshl_add_u64 v[2:3], s[4:5], 0, v[0:1]
	global_load_ushort v6, v[4:5], off
	global_load_ushort v7, v[2:3], off
	v_lshl_add_u64 v[0:1], s[8:9], 0, v[0:1]
	s_waitcnt vmcnt(1)
	v_cmp_lt_f16_e32 vcc, 0, v6
	s_waitcnt vmcnt(0)
	s_nop 0
	v_cndmask_b32_e32 v2, 0, v7, vcc
	global_store_short v[0:1], v2, off
.LBB1_4:
	s_endpgm
	.section	.rodata,"a",@progbits
	.p2align	6, 0x0
	.amdhsa_kernel _Z14ReluGrad_impl2PK6__halfS1_PS_i
		.amdhsa_group_segment_fixed_size 0
		.amdhsa_private_segment_fixed_size 0
		.amdhsa_kernarg_size 288
		.amdhsa_user_sgpr_count 2
		.amdhsa_user_sgpr_dispatch_ptr 0
		.amdhsa_user_sgpr_queue_ptr 0
		.amdhsa_user_sgpr_kernarg_segment_ptr 1
		.amdhsa_user_sgpr_dispatch_id 0
		.amdhsa_user_sgpr_kernarg_preload_length 0
		.amdhsa_user_sgpr_kernarg_preload_offset 0
		.amdhsa_user_sgpr_private_segment_size 0
		.amdhsa_uses_dynamic_stack 0
		.amdhsa_enable_private_segment 0
		.amdhsa_system_sgpr_workgroup_id_x 1
		.amdhsa_system_sgpr_workgroup_id_y 0
		.amdhsa_system_sgpr_workgroup_id_z 0
		.amdhsa_system_sgpr_workgroup_info 0
		.amdhsa_system_vgpr_workitem_id 0
		.amdhsa_next_free_vgpr 17
		.amdhsa_next_free_sgpr 12
		.amdhsa_accum_offset 20
		.amdhsa_reserve_vcc 1
		.amdhsa_float_round_mode_32 0
		.amdhsa_float_round_mode_16_64 0
		.amdhsa_float_denorm_mode_32 3
		.amdhsa_float_denorm_mode_16_64 3
		.amdhsa_dx10_clamp 1
		.amdhsa_ieee_mode 1
		.amdhsa_fp16_overflow 0
		.amdhsa_tg_split 0
		.amdhsa_exception_fp_ieee_invalid_op 0
		.amdhsa_exception_fp_denorm_src 0
		.amdhsa_exception_fp_ieee_div_zero 0
		.amdhsa_exception_fp_ieee_overflow 0
		.amdhsa_exception_fp_ieee_underflow 0
		.amdhsa_exception_fp_ieee_inexact 0
		.amdhsa_exception_int_div_zero 0
	.end_amdhsa_kernel
	.text
.Lfunc_end1:
	.size	_Z14ReluGrad_impl2PK6__halfS1_PS_i, .Lfunc_end1-_Z14ReluGrad_impl2PK6__halfS1_PS_i
                                        ; -- End function
	.set _Z14ReluGrad_impl2PK6__halfS1_PS_i.num_vgpr, 17
	.set _Z14ReluGrad_impl2PK6__halfS1_PS_i.num_agpr, 0
	.set _Z14ReluGrad_impl2PK6__halfS1_PS_i.numbered_sgpr, 12
	.set _Z14ReluGrad_impl2PK6__halfS1_PS_i.num_named_barrier, 0
	.set _Z14ReluGrad_impl2PK6__halfS1_PS_i.private_seg_size, 0
	.set _Z14ReluGrad_impl2PK6__halfS1_PS_i.uses_vcc, 1
	.set _Z14ReluGrad_impl2PK6__halfS1_PS_i.uses_flat_scratch, 0
	.set _Z14ReluGrad_impl2PK6__halfS1_PS_i.has_dyn_sized_stack, 0
	.set _Z14ReluGrad_impl2PK6__halfS1_PS_i.has_recursion, 0
	.set _Z14ReluGrad_impl2PK6__halfS1_PS_i.has_indirect_call, 0
	.section	.AMDGPU.csdata,"",@progbits
; Kernel info:
; codeLenInByte = 440
; TotalNumSgprs: 18
; NumVgprs: 17
; NumAgprs: 0
; TotalNumVgprs: 17
; ScratchSize: 0
; MemoryBound: 0
; FloatMode: 240
; IeeeMode: 1
; LDSByteSize: 0 bytes/workgroup (compile time only)
; SGPRBlocks: 2
; VGPRBlocks: 2
; NumSGPRsForWavesPerEU: 18
; NumVGPRsForWavesPerEU: 17
; AccumOffset: 20
; Occupancy: 8
; WaveLimiterHint : 0
; COMPUTE_PGM_RSRC2:SCRATCH_EN: 0
; COMPUTE_PGM_RSRC2:USER_SGPR: 2
; COMPUTE_PGM_RSRC2:TRAP_HANDLER: 0
; COMPUTE_PGM_RSRC2:TGID_X_EN: 1
; COMPUTE_PGM_RSRC2:TGID_Y_EN: 0
; COMPUTE_PGM_RSRC2:TGID_Z_EN: 0
; COMPUTE_PGM_RSRC2:TIDIG_COMP_CNT: 0
; COMPUTE_PGM_RSRC3_GFX90A:ACCUM_OFFSET: 4
; COMPUTE_PGM_RSRC3_GFX90A:TG_SPLIT: 0
	.text
	.protected	_Z10Relu_impl1iPKiPi    ; -- Begin function _Z10Relu_impl1iPKiPi
	.globl	_Z10Relu_impl1iPKiPi
	.p2align	8
	.type	_Z10Relu_impl1iPKiPi,@function
_Z10Relu_impl1iPKiPi:                   ; @_Z10Relu_impl1iPKiPi
; %bb.0:
	s_load_dword s3, s[0:1], 0x24
	s_load_dword s4, s[0:1], 0x0
	s_waitcnt lgkmcnt(0)
	s_and_b32 s3, s3, 0xffff
	s_mul_i32 s2, s2, s3
	v_add_u32_e32 v0, s2, v0
	v_cmp_gt_i32_e32 vcc, s4, v0
	s_and_saveexec_b64 s[2:3], vcc
	s_cbranch_execz .LBB2_2
; %bb.1:
	s_load_dwordx4 s[4:7], s[0:1], 0x8
	v_ashrrev_i32_e32 v1, 31, v0
	v_lshlrev_b64 v[0:1], 2, v[0:1]
	s_waitcnt lgkmcnt(0)
	v_lshl_add_u64 v[2:3], s[4:5], 0, v[0:1]
	global_load_dword v2, v[2:3], off
	v_lshl_add_u64 v[0:1], s[6:7], 0, v[0:1]
	s_waitcnt vmcnt(0)
	v_bfe_i32 v3, v2, 0, 8
	v_bfe_i32 v4, v2, 8, 8
	;; [unrolled: 1-line block ×3, first 2 shown]
	v_ashrrev_i32_e32 v8, 24, v2
	v_cvt_f64_i32_e32 v[2:3], v3
	v_cvt_f64_i32_e32 v[4:5], v4
	v_cvt_f64_i32_e32 v[6:7], v6
	v_cvt_f64_i32_e32 v[8:9], v8
	v_max_f64 v[2:3], v[2:3], 0
	v_max_f64 v[4:5], v[4:5], 0
	;; [unrolled: 1-line block ×4, first 2 shown]
	v_cvt_u32_f64_e32 v2, v[2:3]
	v_cvt_u32_f64_e32 v3, v[4:5]
	;; [unrolled: 1-line block ×4, first 2 shown]
	v_lshlrev_b32_e32 v5, 24, v5
	v_lshlrev_b32_e32 v3, 8, v3
	v_lshl_or_b32 v2, v4, 16, v2
	v_or3_b32 v2, v2, v5, v3
	global_store_dword v[0:1], v2, off
.LBB2_2:
	s_endpgm
	.section	.rodata,"a",@progbits
	.p2align	6, 0x0
	.amdhsa_kernel _Z10Relu_impl1iPKiPi
		.amdhsa_group_segment_fixed_size 0
		.amdhsa_private_segment_fixed_size 0
		.amdhsa_kernarg_size 280
		.amdhsa_user_sgpr_count 2
		.amdhsa_user_sgpr_dispatch_ptr 0
		.amdhsa_user_sgpr_queue_ptr 0
		.amdhsa_user_sgpr_kernarg_segment_ptr 1
		.amdhsa_user_sgpr_dispatch_id 0
		.amdhsa_user_sgpr_kernarg_preload_length 0
		.amdhsa_user_sgpr_kernarg_preload_offset 0
		.amdhsa_user_sgpr_private_segment_size 0
		.amdhsa_uses_dynamic_stack 0
		.amdhsa_enable_private_segment 0
		.amdhsa_system_sgpr_workgroup_id_x 1
		.amdhsa_system_sgpr_workgroup_id_y 0
		.amdhsa_system_sgpr_workgroup_id_z 0
		.amdhsa_system_sgpr_workgroup_info 0
		.amdhsa_system_vgpr_workitem_id 0
		.amdhsa_next_free_vgpr 10
		.amdhsa_next_free_sgpr 8
		.amdhsa_accum_offset 12
		.amdhsa_reserve_vcc 1
		.amdhsa_float_round_mode_32 0
		.amdhsa_float_round_mode_16_64 0
		.amdhsa_float_denorm_mode_32 3
		.amdhsa_float_denorm_mode_16_64 3
		.amdhsa_dx10_clamp 1
		.amdhsa_ieee_mode 1
		.amdhsa_fp16_overflow 0
		.amdhsa_tg_split 0
		.amdhsa_exception_fp_ieee_invalid_op 0
		.amdhsa_exception_fp_denorm_src 0
		.amdhsa_exception_fp_ieee_div_zero 0
		.amdhsa_exception_fp_ieee_overflow 0
		.amdhsa_exception_fp_ieee_underflow 0
		.amdhsa_exception_fp_ieee_inexact 0
		.amdhsa_exception_int_div_zero 0
	.end_amdhsa_kernel
	.text
.Lfunc_end2:
	.size	_Z10Relu_impl1iPKiPi, .Lfunc_end2-_Z10Relu_impl1iPKiPi
                                        ; -- End function
	.set _Z10Relu_impl1iPKiPi.num_vgpr, 10
	.set _Z10Relu_impl1iPKiPi.num_agpr, 0
	.set _Z10Relu_impl1iPKiPi.numbered_sgpr, 8
	.set _Z10Relu_impl1iPKiPi.num_named_barrier, 0
	.set _Z10Relu_impl1iPKiPi.private_seg_size, 0
	.set _Z10Relu_impl1iPKiPi.uses_vcc, 1
	.set _Z10Relu_impl1iPKiPi.uses_flat_scratch, 0
	.set _Z10Relu_impl1iPKiPi.has_dyn_sized_stack, 0
	.set _Z10Relu_impl1iPKiPi.has_recursion, 0
	.set _Z10Relu_impl1iPKiPi.has_indirect_call, 0
	.section	.AMDGPU.csdata,"",@progbits
; Kernel info:
; codeLenInByte = 228
; TotalNumSgprs: 14
; NumVgprs: 10
; NumAgprs: 0
; TotalNumVgprs: 10
; ScratchSize: 0
; MemoryBound: 0
; FloatMode: 240
; IeeeMode: 1
; LDSByteSize: 0 bytes/workgroup (compile time only)
; SGPRBlocks: 1
; VGPRBlocks: 1
; NumSGPRsForWavesPerEU: 14
; NumVGPRsForWavesPerEU: 10
; AccumOffset: 12
; Occupancy: 8
; WaveLimiterHint : 0
; COMPUTE_PGM_RSRC2:SCRATCH_EN: 0
; COMPUTE_PGM_RSRC2:USER_SGPR: 2
; COMPUTE_PGM_RSRC2:TRAP_HANDLER: 0
; COMPUTE_PGM_RSRC2:TGID_X_EN: 1
; COMPUTE_PGM_RSRC2:TGID_Y_EN: 0
; COMPUTE_PGM_RSRC2:TGID_Z_EN: 0
; COMPUTE_PGM_RSRC2:TIDIG_COMP_CNT: 0
; COMPUTE_PGM_RSRC3_GFX90A:ACCUM_OFFSET: 2
; COMPUTE_PGM_RSRC3_GFX90A:TG_SPLIT: 0
	.text
	.p2alignl 6, 3212836864
	.fill 256, 4, 3212836864
	.section	.AMDGPU.gpr_maximums,"",@progbits
	.set amdgpu.max_num_vgpr, 0
	.set amdgpu.max_num_agpr, 0
	.set amdgpu.max_num_sgpr, 0
	.text
	.type	__hip_cuid_38fcbc3646f89ad9,@object ; @__hip_cuid_38fcbc3646f89ad9
	.section	.bss,"aw",@nobits
	.globl	__hip_cuid_38fcbc3646f89ad9
__hip_cuid_38fcbc3646f89ad9:
	.byte	0                               ; 0x0
	.size	__hip_cuid_38fcbc3646f89ad9, 1

	.ident	"AMD clang version 22.0.0git (https://github.com/RadeonOpenCompute/llvm-project roc-7.2.4 26084 f58b06dce1f9c15707c5f808fd002e18c2accf7e)"
	.section	".note.GNU-stack","",@progbits
	.addrsig
	.addrsig_sym __hip_cuid_38fcbc3646f89ad9
	.amdgpu_metadata
---
amdhsa.kernels:
  - .agpr_count:     0
    .args:
      - .actual_access:  read_only
        .address_space:  global
        .offset:         0
        .size:           8
        .value_kind:     global_buffer
      - .actual_access:  read_only
        .address_space:  global
        .offset:         8
        .size:           8
        .value_kind:     global_buffer
      - .actual_access:  write_only
        .address_space:  global
        .offset:         16
        .size:           8
        .value_kind:     global_buffer
      - .offset:         24
        .size:           4
        .value_kind:     by_value
      - .offset:         32
        .size:           4
        .value_kind:     hidden_block_count_x
      - .offset:         36
        .size:           4
        .value_kind:     hidden_block_count_y
      - .offset:         40
        .size:           4
        .value_kind:     hidden_block_count_z
      - .offset:         44
        .size:           2
        .value_kind:     hidden_group_size_x
      - .offset:         46
        .size:           2
        .value_kind:     hidden_group_size_y
      - .offset:         48
        .size:           2
        .value_kind:     hidden_group_size_z
      - .offset:         50
        .size:           2
        .value_kind:     hidden_remainder_x
      - .offset:         52
        .size:           2
        .value_kind:     hidden_remainder_y
      - .offset:         54
        .size:           2
        .value_kind:     hidden_remainder_z
      - .offset:         72
        .size:           8
        .value_kind:     hidden_global_offset_x
      - .offset:         80
        .size:           8
        .value_kind:     hidden_global_offset_y
      - .offset:         88
        .size:           8
        .value_kind:     hidden_global_offset_z
      - .offset:         96
        .size:           2
        .value_kind:     hidden_grid_dims
    .group_segment_fixed_size: 0
    .kernarg_segment_align: 8
    .kernarg_segment_size: 288
    .language:       OpenCL C
    .language_version:
      - 2
      - 0
    .max_flat_workgroup_size: 1024
    .name:           _Z14ReluGrad_impl1PK6__halfS1_PS_i
    .private_segment_fixed_size: 0
    .sgpr_count:     22
    .sgpr_spill_count: 0
    .symbol:         _Z14ReluGrad_impl1PK6__halfS1_PS_i.kd
    .uniform_work_group_size: 1
    .uses_dynamic_stack: false
    .vgpr_count:     10
    .vgpr_spill_count: 0
    .wavefront_size: 64
  - .agpr_count:     0
    .args:
      - .actual_access:  read_only
        .address_space:  global
        .offset:         0
        .size:           8
        .value_kind:     global_buffer
      - .actual_access:  read_only
        .address_space:  global
        .offset:         8
        .size:           8
        .value_kind:     global_buffer
      - .actual_access:  write_only
        .address_space:  global
        .offset:         16
        .size:           8
        .value_kind:     global_buffer
      - .offset:         24
        .size:           4
        .value_kind:     by_value
      - .offset:         32
        .size:           4
        .value_kind:     hidden_block_count_x
      - .offset:         36
        .size:           4
        .value_kind:     hidden_block_count_y
      - .offset:         40
        .size:           4
        .value_kind:     hidden_block_count_z
      - .offset:         44
        .size:           2
        .value_kind:     hidden_group_size_x
      - .offset:         46
        .size:           2
        .value_kind:     hidden_group_size_y
      - .offset:         48
        .size:           2
        .value_kind:     hidden_group_size_z
      - .offset:         50
        .size:           2
        .value_kind:     hidden_remainder_x
      - .offset:         52
        .size:           2
        .value_kind:     hidden_remainder_y
      - .offset:         54
        .size:           2
        .value_kind:     hidden_remainder_z
      - .offset:         72
        .size:           8
        .value_kind:     hidden_global_offset_x
      - .offset:         80
        .size:           8
        .value_kind:     hidden_global_offset_y
      - .offset:         88
        .size:           8
        .value_kind:     hidden_global_offset_z
      - .offset:         96
        .size:           2
        .value_kind:     hidden_grid_dims
    .group_segment_fixed_size: 0
    .kernarg_segment_align: 8
    .kernarg_segment_size: 288
    .language:       OpenCL C
    .language_version:
      - 2
      - 0
    .max_flat_workgroup_size: 1024
    .name:           _Z14ReluGrad_impl2PK6__halfS1_PS_i
    .private_segment_fixed_size: 0
    .sgpr_count:     18
    .sgpr_spill_count: 0
    .symbol:         _Z14ReluGrad_impl2PK6__halfS1_PS_i.kd
    .uniform_work_group_size: 1
    .uses_dynamic_stack: false
    .vgpr_count:     17
    .vgpr_spill_count: 0
    .wavefront_size: 64
  - .agpr_count:     0
    .args:
      - .offset:         0
        .size:           4
        .value_kind:     by_value
      - .address_space:  global
        .offset:         8
        .size:           8
        .value_kind:     global_buffer
      - .address_space:  global
        .offset:         16
        .size:           8
        .value_kind:     global_buffer
      - .offset:         24
        .size:           4
        .value_kind:     hidden_block_count_x
      - .offset:         28
        .size:           4
        .value_kind:     hidden_block_count_y
      - .offset:         32
        .size:           4
        .value_kind:     hidden_block_count_z
      - .offset:         36
        .size:           2
        .value_kind:     hidden_group_size_x
      - .offset:         38
        .size:           2
        .value_kind:     hidden_group_size_y
      - .offset:         40
        .size:           2
        .value_kind:     hidden_group_size_z
      - .offset:         42
        .size:           2
        .value_kind:     hidden_remainder_x
      - .offset:         44
        .size:           2
        .value_kind:     hidden_remainder_y
      - .offset:         46
        .size:           2
        .value_kind:     hidden_remainder_z
      - .offset:         64
        .size:           8
        .value_kind:     hidden_global_offset_x
      - .offset:         72
        .size:           8
        .value_kind:     hidden_global_offset_y
      - .offset:         80
        .size:           8
        .value_kind:     hidden_global_offset_z
      - .offset:         88
        .size:           2
        .value_kind:     hidden_grid_dims
    .group_segment_fixed_size: 0
    .kernarg_segment_align: 8
    .kernarg_segment_size: 280
    .language:       OpenCL C
    .language_version:
      - 2
      - 0
    .max_flat_workgroup_size: 1024
    .name:           _Z10Relu_impl1iPKiPi
    .private_segment_fixed_size: 0
    .sgpr_count:     14
    .sgpr_spill_count: 0
    .symbol:         _Z10Relu_impl1iPKiPi.kd
    .uniform_work_group_size: 1
    .uses_dynamic_stack: false
    .vgpr_count:     10
    .vgpr_spill_count: 0
    .wavefront_size: 64
amdhsa.target:   amdgcn-amd-amdhsa--gfx950
amdhsa.version:
  - 1
  - 2
...

	.end_amdgpu_metadata
